;; amdgpu-corpus repo=zjin-lcf/HeCBench kind=compiled arch=gfx906 opt=O3
	.amdgcn_target "amdgcn-amd-amdhsa--gfx906"
	.amdhsa_code_object_version 6
	.text
	.protected	_Z16tensor_transposeiiiiPKiS0_PKfS2_S0_S0_S0_PKdPd ; -- Begin function _Z16tensor_transposeiiiiPKiS0_PKfS2_S0_S0_S0_PKdPd
	.globl	_Z16tensor_transposeiiiiPKiS0_PKfS2_S0_S0_S0_PKdPd
	.p2align	8
	.type	_Z16tensor_transposeiiiiPKiS0_PKfS2_S0_S0_S0_PKdPd,@function
_Z16tensor_transposeiiiiPKiS0_PKfS2_S0_S0_S0_PKdPd: ; @_Z16tensor_transposeiiiiPKiS0_PKfS2_S0_S0_S0_PKdPd
; %bb.0:
	s_load_dwordx4 s[24:27], s[4:5], 0x0
	s_waitcnt lgkmcnt(0)
	s_cmp_ge_i32 s6, s26
	s_cbranch_scc1 .LBB0_17
; %bb.1:
	s_cmp_gt_i32 s24, 0
	s_cselect_b64 s[2:3], -1, 0
	s_load_dwordx2 s[28:29], s[4:5], 0x50
	s_load_dword s7, s[4:5], 0x58
	s_add_u32 s30, s4, 0x58
	s_load_dwordx16 s[8:23], s[4:5], 0x10
	s_addc_u32 s31, s5, 0
	s_cmp_gt_i32 s25, 0
	v_cndmask_b32_e64 v1, 0, 1, s[2:3]
	s_cselect_b64 s[4:5], -1, 0
	v_cmp_ne_u32_e64 s[2:3], 1, v1
	v_cndmask_b32_e64 v1, 0, 1, s[4:5]
	v_cmp_gt_i32_e64 s[0:1], s27, v0
	s_mul_i32 s33, s6, s27
	s_waitcnt lgkmcnt(0)
	s_mul_i32 s46, s7, s27
	v_lshlrev_b32_e32 v5, 3, v0
	v_cmp_ne_u32_e64 s[4:5], 1, v1
	s_branch .LBB0_3
.LBB0_2:                                ;   in Loop: Header=BB0_3 Depth=1
	s_or_b64 exec, exec, s[34:35]
	s_add_i32 s6, s7, s6
	s_add_i32 s33, s33, s46
	s_cmp_ge_i32 s6, s26
	s_waitcnt vmcnt(0)
	s_barrier
	s_cbranch_scc1 .LBB0_17
.LBB0_3:                                ; =>This Loop Header: Depth=1
                                        ;     Child Loop BB0_5 Depth 2
                                        ;     Child Loop BB0_9 Depth 2
	;; [unrolled: 1-line block ×3, first 2 shown]
                                        ;       Child Loop BB0_16 Depth 3
	s_and_b64 vcc, exec, s[2:3]
	s_cbranch_vccnz .LBB0_7
; %bb.4:                                ;   in Loop: Header=BB0_3 Depth=1
	v_mov_b32_e32 v1, s6
	v_mov_b32_e32 v6, 0
	s_mov_b64 s[34:35], s[8:9]
	s_mov_b64 s[36:37], s[16:17]
	;; [unrolled: 1-line block ×3, first 2 shown]
	s_mov_b32 s40, s24
.LBB0_5:                                ;   Parent Loop BB0_3 Depth=1
                                        ; =>  This Inner Loop Header: Depth=2
	s_load_dword s41, s[38:39], 0x0
	v_cvt_f32_i32_e32 v2, v1
	s_load_dword s42, s[36:37], 0x0
	s_load_dword s43, s[34:35], 0x0
	s_add_i32 s40, s40, -1
	s_add_u32 s38, s38, 4
	s_waitcnt lgkmcnt(0)
	v_mul_f32_e32 v2, s41, v2
	v_cvt_i32_f32_e32 v2, v2
	s_addc_u32 s39, s39, 0
	s_add_u32 s36, s36, 4
	s_addc_u32 s37, s37, 0
	v_mul_lo_u32 v3, s43, v2
	s_add_u32 s34, s34, 4
	s_addc_u32 s35, s35, 0
	s_cmp_eq_u32 s40, 0
	v_sub_u32_e32 v1, v1, v3
	v_mul_lo_u32 v3, v1, s42
	v_mov_b32_e32 v1, v2
	v_add_u32_e32 v6, v3, v6
	s_cbranch_scc0 .LBB0_5
; %bb.6:                                ;   in Loop: Header=BB0_3 Depth=1
	s_and_saveexec_b64 s[34:35], s[0:1]
	s_cbranch_execnz .LBB0_8
	s_branch .LBB0_10
.LBB0_7:                                ;   in Loop: Header=BB0_3 Depth=1
	v_mov_b32_e32 v6, 0
	s_and_saveexec_b64 s[34:35], s[0:1]
	s_cbranch_execz .LBB0_10
.LBB0_8:                                ;   in Loop: Header=BB0_3 Depth=1
	s_load_dword s38, s[30:31], 0xc
	s_mov_b64 s[36:37], 0
	v_mov_b32_e32 v1, v5
	v_mov_b32_e32 v2, v0
	s_waitcnt lgkmcnt(0)
	s_and_b32 s38, s38, 0xffff
	s_lshl_b32 s39, s38, 3
.LBB0_9:                                ;   Parent Loop BB0_3 Depth=1
                                        ; =>  This Inner Loop Header: Depth=2
	v_add_u32_e32 v3, s33, v2
	v_ashrrev_i32_e32 v4, 31, v3
	v_lshlrev_b64 v[3:4], 3, v[3:4]
	v_mov_b32_e32 v7, s23
	v_add_co_u32_e32 v3, vcc, s22, v3
	v_addc_co_u32_e32 v4, vcc, v7, v4, vcc
	global_load_dwordx2 v[3:4], v[3:4], off
	v_add_u32_e32 v2, s38, v2
	v_cmp_le_i32_e32 vcc, s27, v2
	s_or_b64 s[36:37], vcc, s[36:37]
	s_waitcnt vmcnt(0)
	ds_write_b64 v1, v[3:4]
	v_add_u32_e32 v1, s39, v1
	s_andn2_b64 exec, exec, s[36:37]
	s_cbranch_execnz .LBB0_9
.LBB0_10:                               ;   in Loop: Header=BB0_3 Depth=1
	s_or_b64 exec, exec, s[34:35]
	s_waitcnt lgkmcnt(0)
	s_barrier
	s_and_saveexec_b64 s[34:35], s[0:1]
	s_cbranch_execz .LBB0_2
; %bb.11:                               ;   in Loop: Header=BB0_3 Depth=1
	s_load_dword s38, s[30:31], 0xc
	s_mov_b64 s[36:37], 0
	v_mov_b32_e32 v7, v0
	s_waitcnt lgkmcnt(0)
	s_and_b32 s47, s38, 0xffff
	s_branch .LBB0_14
.LBB0_12:                               ;   in Loop: Header=BB0_14 Depth=2
	v_mov_b32_e32 v3, 0
.LBB0_13:                               ;   in Loop: Header=BB0_14 Depth=2
	v_add_u32_e32 v3, v3, v6
	v_ashrrev_i32_e32 v4, 31, v3
	v_lshlrev_b32_e32 v1, 3, v1
	v_lshlrev_b64 v[3:4], 3, v[3:4]
	ds_read_b64 v[1:2], v1
	v_mov_b32_e32 v8, s29
	v_add_co_u32_e32 v3, vcc, s28, v3
	v_addc_co_u32_e32 v4, vcc, v8, v4, vcc
	v_add_u32_e32 v7, s47, v7
	v_cmp_le_i32_e32 vcc, s27, v7
	s_or_b64 s[36:37], vcc, s[36:37]
	s_waitcnt lgkmcnt(0)
	global_store_dwordx2 v[3:4], v[1:2], off
	s_andn2_b64 exec, exec, s[36:37]
	s_cbranch_execz .LBB0_2
.LBB0_14:                               ;   Parent Loop BB0_3 Depth=1
                                        ; =>  This Loop Header: Depth=2
                                        ;       Child Loop BB0_16 Depth 3
	v_mov_b32_e32 v1, 0
	s_and_b64 vcc, exec, s[4:5]
	s_cbranch_vccnz .LBB0_12
; %bb.15:                               ;   in Loop: Header=BB0_14 Depth=2
	s_mov_b64 s[38:39], s[18:19]
	s_mov_b64 s[40:41], s[20:21]
	;; [unrolled: 1-line block ×4, first 2 shown]
	s_mov_b32 s48, s25
	v_mov_b32_e32 v3, 0
	v_mov_b32_e32 v2, v7
.LBB0_16:                               ;   Parent Loop BB0_3 Depth=1
                                        ;     Parent Loop BB0_14 Depth=2
                                        ; =>    This Inner Loop Header: Depth=3
	v_cvt_f32_i32_e32 v4, v2
	s_load_dword s49, s[44:45], 0x0
	s_load_dword s50, s[42:43], 0x0
	s_load_dword s51, s[40:41], 0x0
	s_load_dword s52, s[38:39], 0x0
	s_add_i32 s48, s48, -1
	s_add_u32 s44, s44, 4
	s_waitcnt lgkmcnt(0)
	v_mul_f32_e32 v4, s49, v4
	v_cvt_i32_f32_e32 v8, v4
	s_addc_u32 s45, s45, 0
	s_add_u32 s42, s42, 4
	s_addc_u32 s43, s43, 0
	v_mul_lo_u32 v4, s50, v8
	s_add_u32 s40, s40, 4
	s_addc_u32 s41, s41, 0
	s_add_u32 s38, s38, 4
	v_sub_u32_e32 v2, v2, v4
	v_mad_u64_u32 v[3:4], s[50:51], v2, s51, v[3:4]
	v_mad_u64_u32 v[1:2], s[50:51], v2, s52, v[1:2]
	s_addc_u32 s39, s39, 0
	s_cmp_eq_u32 s48, 0
	v_mov_b32_e32 v2, v8
	s_cbranch_scc0 .LBB0_16
	s_branch .LBB0_13
.LBB0_17:
	s_endpgm
	.section	.rodata,"a",@progbits
	.p2align	6, 0x0
	.amdhsa_kernel _Z16tensor_transposeiiiiPKiS0_PKfS2_S0_S0_S0_PKdPd
		.amdhsa_group_segment_fixed_size 47200
		.amdhsa_private_segment_fixed_size 0
		.amdhsa_kernarg_size 344
		.amdhsa_user_sgpr_count 6
		.amdhsa_user_sgpr_private_segment_buffer 1
		.amdhsa_user_sgpr_dispatch_ptr 0
		.amdhsa_user_sgpr_queue_ptr 0
		.amdhsa_user_sgpr_kernarg_segment_ptr 1
		.amdhsa_user_sgpr_dispatch_id 0
		.amdhsa_user_sgpr_flat_scratch_init 0
		.amdhsa_user_sgpr_private_segment_size 0
		.amdhsa_uses_dynamic_stack 0
		.amdhsa_system_sgpr_private_segment_wavefront_offset 0
		.amdhsa_system_sgpr_workgroup_id_x 1
		.amdhsa_system_sgpr_workgroup_id_y 0
		.amdhsa_system_sgpr_workgroup_id_z 0
		.amdhsa_system_sgpr_workgroup_info 0
		.amdhsa_system_vgpr_workitem_id 0
		.amdhsa_next_free_vgpr 49
		.amdhsa_next_free_sgpr 98
		.amdhsa_reserve_vcc 1
		.amdhsa_reserve_flat_scratch 0
		.amdhsa_float_round_mode_32 0
		.amdhsa_float_round_mode_16_64 0
		.amdhsa_float_denorm_mode_32 3
		.amdhsa_float_denorm_mode_16_64 3
		.amdhsa_dx10_clamp 1
		.amdhsa_ieee_mode 1
		.amdhsa_fp16_overflow 0
		.amdhsa_exception_fp_ieee_invalid_op 0
		.amdhsa_exception_fp_denorm_src 0
		.amdhsa_exception_fp_ieee_div_zero 0
		.amdhsa_exception_fp_ieee_overflow 0
		.amdhsa_exception_fp_ieee_underflow 0
		.amdhsa_exception_fp_ieee_inexact 0
		.amdhsa_exception_int_div_zero 0
	.end_amdhsa_kernel
	.text
.Lfunc_end0:
	.size	_Z16tensor_transposeiiiiPKiS0_PKfS2_S0_S0_S0_PKdPd, .Lfunc_end0-_Z16tensor_transposeiiiiPKiS0_PKfS2_S0_S0_S0_PKdPd
                                        ; -- End function
	.set _Z16tensor_transposeiiiiPKiS0_PKfS2_S0_S0_S0_PKdPd.num_vgpr, 9
	.set _Z16tensor_transposeiiiiPKiS0_PKfS2_S0_S0_S0_PKdPd.num_agpr, 0
	.set _Z16tensor_transposeiiiiPKiS0_PKfS2_S0_S0_S0_PKdPd.numbered_sgpr, 53
	.set _Z16tensor_transposeiiiiPKiS0_PKfS2_S0_S0_S0_PKdPd.num_named_barrier, 0
	.set _Z16tensor_transposeiiiiPKiS0_PKfS2_S0_S0_S0_PKdPd.private_seg_size, 0
	.set _Z16tensor_transposeiiiiPKiS0_PKfS2_S0_S0_S0_PKdPd.uses_vcc, 1
	.set _Z16tensor_transposeiiiiPKiS0_PKfS2_S0_S0_S0_PKdPd.uses_flat_scratch, 0
	.set _Z16tensor_transposeiiiiPKiS0_PKfS2_S0_S0_S0_PKdPd.has_dyn_sized_stack, 0
	.set _Z16tensor_transposeiiiiPKiS0_PKfS2_S0_S0_S0_PKdPd.has_recursion, 0
	.set _Z16tensor_transposeiiiiPKiS0_PKfS2_S0_S0_S0_PKdPd.has_indirect_call, 0
	.section	.AMDGPU.csdata,"",@progbits
; Kernel info:
; codeLenInByte = 728
; TotalNumSgprs: 57
; NumVgprs: 9
; ScratchSize: 0
; MemoryBound: 0
; FloatMode: 240
; IeeeMode: 1
; LDSByteSize: 47200 bytes/workgroup (compile time only)
; SGPRBlocks: 12
; VGPRBlocks: 12
; NumSGPRsForWavesPerEU: 102
; NumVGPRsForWavesPerEU: 49
; Occupancy: 4
; WaveLimiterHint : 0
; COMPUTE_PGM_RSRC2:SCRATCH_EN: 0
; COMPUTE_PGM_RSRC2:USER_SGPR: 6
; COMPUTE_PGM_RSRC2:TRAP_HANDLER: 0
; COMPUTE_PGM_RSRC2:TGID_X_EN: 1
; COMPUTE_PGM_RSRC2:TGID_Y_EN: 0
; COMPUTE_PGM_RSRC2:TGID_Z_EN: 0
; COMPUTE_PGM_RSRC2:TIDIG_COMP_CNT: 0
	.section	.AMDGPU.gpr_maximums,"",@progbits
	.set amdgpu.max_num_vgpr, 0
	.set amdgpu.max_num_agpr, 0
	.set amdgpu.max_num_sgpr, 0
	.section	.AMDGPU.csdata,"",@progbits
	.type	__hip_cuid_fa6813b467a71539,@object ; @__hip_cuid_fa6813b467a71539
	.section	.bss,"aw",@nobits
	.globl	__hip_cuid_fa6813b467a71539
__hip_cuid_fa6813b467a71539:
	.byte	0                               ; 0x0
	.size	__hip_cuid_fa6813b467a71539, 1

	.ident	"AMD clang version 22.0.0git (https://github.com/RadeonOpenCompute/llvm-project roc-7.2.4 26084 f58b06dce1f9c15707c5f808fd002e18c2accf7e)"
	.section	".note.GNU-stack","",@progbits
	.addrsig
	.addrsig_sym __hip_cuid_fa6813b467a71539
	.amdgpu_metadata
---
amdhsa.kernels:
  - .args:
      - .offset:         0
        .size:           4
        .value_kind:     by_value
      - .offset:         4
        .size:           4
        .value_kind:     by_value
      - .offset:         8
        .size:           4
        .value_kind:     by_value
      - .offset:         12
        .size:           4
        .value_kind:     by_value
      - .address_space:  global
        .offset:         16
        .size:           8
        .value_kind:     global_buffer
      - .address_space:  global
        .offset:         24
        .size:           8
        .value_kind:     global_buffer
      - .address_space:  global
        .offset:         32
        .size:           8
        .value_kind:     global_buffer
      - .address_space:  global
        .offset:         40
        .size:           8
        .value_kind:     global_buffer
      - .address_space:  global
        .offset:         48
        .size:           8
        .value_kind:     global_buffer
      - .address_space:  global
        .offset:         56
        .size:           8
        .value_kind:     global_buffer
      - .address_space:  global
        .offset:         64
        .size:           8
        .value_kind:     global_buffer
      - .address_space:  global
        .offset:         72
        .size:           8
        .value_kind:     global_buffer
      - .address_space:  global
        .offset:         80
        .size:           8
        .value_kind:     global_buffer
      - .offset:         88
        .size:           4
        .value_kind:     hidden_block_count_x
      - .offset:         92
        .size:           4
        .value_kind:     hidden_block_count_y
      - .offset:         96
        .size:           4
        .value_kind:     hidden_block_count_z
      - .offset:         100
        .size:           2
        .value_kind:     hidden_group_size_x
      - .offset:         102
        .size:           2
        .value_kind:     hidden_group_size_y
      - .offset:         104
        .size:           2
        .value_kind:     hidden_group_size_z
      - .offset:         106
        .size:           2
        .value_kind:     hidden_remainder_x
      - .offset:         108
        .size:           2
        .value_kind:     hidden_remainder_y
      - .offset:         110
        .size:           2
        .value_kind:     hidden_remainder_z
      - .offset:         128
        .size:           8
        .value_kind:     hidden_global_offset_x
      - .offset:         136
        .size:           8
        .value_kind:     hidden_global_offset_y
      - .offset:         144
        .size:           8
        .value_kind:     hidden_global_offset_z
      - .offset:         152
        .size:           2
        .value_kind:     hidden_grid_dims
    .group_segment_fixed_size: 47200
    .kernarg_segment_align: 8
    .kernarg_segment_size: 344
    .language:       OpenCL C
    .language_version:
      - 2
      - 0
    .max_flat_workgroup_size: 1024
    .name:           _Z16tensor_transposeiiiiPKiS0_PKfS2_S0_S0_S0_PKdPd
    .private_segment_fixed_size: 0
    .sgpr_count:     57
    .sgpr_spill_count: 0
    .symbol:         _Z16tensor_transposeiiiiPKiS0_PKfS2_S0_S0_S0_PKdPd.kd
    .uniform_work_group_size: 1
    .uses_dynamic_stack: false
    .vgpr_count:     9
    .vgpr_spill_count: 0
    .wavefront_size: 64
amdhsa.target:   amdgcn-amd-amdhsa--gfx906
amdhsa.version:
  - 1
  - 2
...

	.end_amdgpu_metadata
